;; amdgpu-corpus repo=zjin-lcf/HeCBench kind=compiled arch=gfx1100 opt=O3
	.text
	.amdgcn_target "amdgcn-amd-amdhsa--gfx1100"
	.amdhsa_code_object_version 6
	.protected	_Z8lb_keoghPKfS0_S0_PfS0_S0_ii ; -- Begin function _Z8lb_keoghPKfS0_S0_PfS0_S0_ii
	.globl	_Z8lb_keoghPKfS0_S0_PfS0_S0_ii
	.p2align	8
	.type	_Z8lb_keoghPKfS0_S0_PfS0_S0_ii,@function
_Z8lb_keoghPKfS0_S0_PfS0_S0_ii:         ; @_Z8lb_keoghPKfS0_S0_PfS0_S0_ii
; %bb.0:
	s_clause 0x2
	s_load_b32 s2, s[0:1], 0x44
	s_load_b128 s[16:19], s[0:1], 0x28
	s_load_b256 s[4:11], s[0:1], 0x8
	s_mov_b32 s12, exec_lo
	s_waitcnt lgkmcnt(0)
	s_and_b32 s2, s2, 0xffff
	s_delay_alu instid0(SALU_CYCLE_1)
	s_add_i32 s3, s2, s18
	s_mul_i32 s15, s15, s2
	v_cmpx_gt_u32_e64 s3, v0
	s_cbranch_execz .LBB0_5
; %bb.1:
	s_load_b64 s[0:1], s[0:1], 0x0
	v_lshl_add_u32 v3, v0, 2, 0
	v_mov_b32_e32 v4, v0
	s_mov_b32 s13, 0
	s_lshl_b32 s14, s2, 2
	s_branch .LBB0_3
	.p2align	6
.LBB0_2:                                ;   in Loop: Header=BB0_3 Depth=1
	s_or_b32 exec_lo, exec_lo, s20
	v_add_nc_u32_e32 v4, s2, v4
	v_add_nc_u32_e32 v3, s14, v3
	s_delay_alu instid0(VALU_DEP_2) | instskip(SKIP_1) | instid1(SALU_CYCLE_1)
	v_cmp_le_u32_e32 vcc_lo, s3, v4
	s_or_b32 s13, vcc_lo, s13
	s_and_not1_b32 exec_lo, exec_lo, s13
	s_cbranch_execz .LBB0_5
.LBB0_3:                                ; =>This Inner Loop Header: Depth=1
	s_delay_alu instid0(VALU_DEP_1) | instskip(SKIP_1) | instid1(VALU_DEP_1)
	v_add_nc_u32_e32 v1, s15, v4
	s_mov_b32 s20, exec_lo
	v_cmpx_gt_i32_e64 s19, v1
	s_cbranch_execz .LBB0_2
; %bb.4:                                ;   in Loop: Header=BB0_3 Depth=1
	v_ashrrev_i32_e32 v2, 31, v1
	s_delay_alu instid0(VALU_DEP_1) | instskip(SKIP_1) | instid1(VALU_DEP_1)
	v_lshlrev_b64 v[1:2], 2, v[1:2]
	s_waitcnt lgkmcnt(0)
	v_add_co_u32 v1, vcc_lo, s0, v1
	s_delay_alu instid0(VALU_DEP_2)
	v_add_co_ci_u32_e32 v2, vcc_lo, s1, v2, vcc_lo
	global_load_b32 v1, v[1:2], off
	s_waitcnt vmcnt(0)
	ds_store_b32 v3, v1
	s_branch .LBB0_2
.LBB0_5:
	s_or_b32 exec_lo, exec_lo, s12
	v_add_nc_u32_e32 v1, s15, v0
	s_waitcnt lgkmcnt(0)
	s_sub_i32 s0, s19, s18
	s_barrier
	buffer_gl0_inv
	v_cmp_ge_i32_e32 vcc_lo, s0, v1
	s_and_saveexec_b32 s0, vcc_lo
	s_cbranch_execz .LBB0_16
; %bb.6:
	v_ashrrev_i32_e32 v2, 31, v1
	s_cmp_lt_i32 s18, 1
	s_delay_alu instid0(VALU_DEP_1)
	v_lshlrev_b64 v[1:2], 2, v[1:2]
	s_cbranch_scc1 .LBB0_11
; %bb.7:
	s_delay_alu instid0(VALU_DEP_1) | instskip(NEXT) | instid1(VALU_DEP_2)
	v_add_co_u32 v3, vcc_lo, s4, v1
	v_add_co_ci_u32_e32 v4, vcc_lo, s5, v2, vcc_lo
	v_add_co_u32 v5, vcc_lo, s6, v1
	v_add_co_ci_u32_e32 v6, vcc_lo, s7, v2, vcc_lo
	s_cmp_lt_u32 s18, 4
	global_load_b32 v3, v[3:4], off
	global_load_b32 v4, v[5:6], off
	s_cbranch_scc1 .LBB0_12
; %bb.8:
	s_and_b32 s20, s18, 0x7ffffffc
	v_lshl_add_u32 v6, v0, 2, 0
	s_add_u32 s19, s10, 8
	v_mov_b32_e32 v5, 0
	s_addc_u32 s21, s11, 0
	s_add_u32 s22, s16, 8
	s_mov_b32 s3, 0
	s_addc_u32 s23, s17, 0
.LBB0_9:                                ; =>This Inner Loop Header: Depth=1
	ds_load_2addr_b32 v[7:8], v6 offset1:1
	ds_load_2addr_b32 v[9:10], v6 offset0:2 offset1:3
	s_add_u32 s0, s19, -8
	s_addc_u32 s1, s21, -1
	s_add_u32 s12, s22, -8
	s_addc_u32 s13, s23, -1
	s_load_b128 s[4:7], s[0:1], 0x0
	s_load_b128 s[12:15], s[12:13], 0x0
	s_add_i32 s3, s3, 4
	s_add_u32 s19, s19, 16
	s_addc_u32 s21, s21, 0
	s_add_u32 s22, s22, 16
	s_addc_u32 s23, s23, 0
	s_cmp_eq_u32 s20, s3
	v_add_nc_u32_e32 v6, 16, v6
	s_waitcnt vmcnt(1) lgkmcnt(0)
	v_sub_f32_e32 v10, v10, v3
	s_waitcnt vmcnt(0)
	s_delay_alu instid0(VALU_DEP_1) | instskip(NEXT) | instid1(VALU_DEP_1)
	v_div_scale_f32 v17, null, v4, v4, v10
	v_rcp_f32_e32 v22, v17
	s_waitcnt_depctr 0xfff
	v_fma_f32 v26, -v17, v22, 1.0
	s_delay_alu instid0(VALU_DEP_1) | instskip(NEXT) | instid1(VALU_DEP_1)
	v_dual_sub_f32 v9, v9, v3 :: v_dual_fmac_f32 v22, v26, v22
	v_div_scale_f32 v15, null, v4, v4, v9
	v_div_scale_f32 v16, s1, v9, v4, v9
	s_delay_alu instid0(VALU_DEP_2) | instskip(SKIP_2) | instid1(VALU_DEP_1)
	v_rcp_f32_e32 v21, v15
	s_waitcnt_depctr 0xfff
	v_fma_f32 v25, -v15, v21, 1.0
	v_dual_sub_f32 v8, v8, v3 :: v_dual_fmac_f32 v21, v25, v21
	s_delay_alu instid0(VALU_DEP_1) | instskip(SKIP_1) | instid1(VALU_DEP_3)
	v_div_scale_f32 v13, null, v4, v4, v8
	v_div_scale_f32 v14, s0, v8, v4, v8
	v_mul_f32_e32 v25, v16, v21
	s_delay_alu instid0(VALU_DEP_3) | instskip(SKIP_1) | instid1(VALU_DEP_2)
	v_rcp_f32_e32 v20, v13
	v_div_scale_f32 v18, s2, v10, v4, v10
	v_fma_f32 v29, -v15, v25, v16
	s_delay_alu instid0(VALU_DEP_2) | instskip(SKIP_4) | instid1(VALU_DEP_3)
	v_mul_f32_e32 v26, v18, v22
	s_waitcnt_depctr 0xfff
	v_fma_f32 v24, -v13, v20, 1.0
	v_sub_f32_e32 v7, v7, v3
	v_fma_f32 v30, -v17, v26, v18
	v_dual_fmac_f32 v25, v29, v21 :: v_dual_fmac_f32 v20, v24, v20
	s_delay_alu instid0(VALU_DEP_3) | instskip(NEXT) | instid1(VALU_DEP_3)
	v_div_scale_f32 v11, null, v4, v4, v7
	v_fmac_f32_e32 v26, v30, v22
	v_div_scale_f32 v12, vcc_lo, v7, v4, v7
	s_delay_alu instid0(VALU_DEP_3) | instskip(SKIP_1) | instid1(VALU_DEP_1)
	v_rcp_f32_e32 v19, v11
	v_mul_f32_e32 v24, v14, v20
	v_fma_f32 v28, -v13, v24, v14
	s_waitcnt_depctr 0xfff
	v_fma_f32 v23, -v11, v19, 1.0
	s_delay_alu instid0(VALU_DEP_1) | instskip(NEXT) | instid1(VALU_DEP_1)
	v_dual_fmac_f32 v24, v28, v20 :: v_dual_fmac_f32 v19, v23, v19
	v_mul_f32_e32 v23, v12, v19
	s_delay_alu instid0(VALU_DEP_1) | instskip(NEXT) | instid1(VALU_DEP_1)
	v_fma_f32 v27, -v11, v23, v12
	v_fmac_f32_e32 v23, v27, v19
	s_delay_alu instid0(VALU_DEP_1) | instskip(SKIP_3) | instid1(VALU_DEP_4)
	v_fma_f32 v11, -v11, v23, v12
	v_fma_f32 v12, -v13, v24, v14
	;; [unrolled: 1-line block ×4, first 2 shown]
	v_div_fmas_f32 v11, v11, v19, v23
	s_mov_b32 vcc_lo, s0
	v_div_fmas_f32 v12, v12, v20, v24
	s_mov_b32 vcc_lo, s1
	s_delay_alu instid0(VALU_DEP_2)
	v_div_fixup_f32 v7, v11, v4, v7
	v_div_fmas_f32 v13, v13, v21, v25
	s_mov_b32 vcc_lo, s2
	v_div_fixup_f32 v8, v12, v4, v8
	v_div_fmas_f32 v11, v14, v22, v26
	v_subrev_f32_e32 v12, s4, v7
	v_subrev_f32_e32 v7, s12, v7
	v_div_fixup_f32 v9, v13, v4, v9
	s_delay_alu instid0(VALU_DEP_4)
	v_div_fixup_f32 v10, v11, v4, v10
	v_subrev_f32_e32 v11, s5, v8
	v_subrev_f32_e32 v8, s13, v8
	v_cmp_lt_f32_e32 vcc_lo, 0, v7
	v_dual_subrev_f32 v13, s6, v9 :: v_dual_mul_f32 v14, v7, v7
	v_mul_f32_e32 v15, v12, v12
	v_dual_subrev_f32 v9, s14, v9 :: v_dual_subrev_f32 v16, s7, v10
	v_cndmask_b32_e64 v7, 0, 1.0, vcc_lo
	v_cmp_gt_f32_e32 vcc_lo, 0, v12
	v_dual_mul_f32 v17, v8, v8 :: v_dual_mul_f32 v18, v11, v11
	v_subrev_f32_e32 v10, s15, v10
	v_mul_f32_e32 v20, v13, v13
	v_cndmask_b32_e64 v12, 0, 1.0, vcc_lo
	v_cmp_lt_f32_e32 vcc_lo, 0, v8
	s_delay_alu instid0(VALU_DEP_2)
	v_dual_mul_f32 v19, v9, v9 :: v_dual_mul_f32 v12, v15, v12
	v_cndmask_b32_e64 v8, 0, 1.0, vcc_lo
	v_cmp_gt_f32_e32 vcc_lo, 0, v11
	v_mul_f32_e32 v21, v16, v16
	v_mul_f32_e32 v15, v10, v10
	v_fmac_f32_e32 v12, v14, v7
	v_cndmask_b32_e64 v11, 0, 1.0, vcc_lo
	v_cmp_lt_f32_e32 vcc_lo, 0, v9
	s_delay_alu instid0(VALU_DEP_3) | instskip(NEXT) | instid1(VALU_DEP_3)
	v_add_f32_e32 v5, v5, v12
	v_mul_f32_e32 v11, v18, v11
	v_cndmask_b32_e64 v9, 0, 1.0, vcc_lo
	v_cmp_gt_f32_e32 vcc_lo, 0, v13
	s_delay_alu instid0(VALU_DEP_3) | instskip(SKIP_2) | instid1(VALU_DEP_3)
	v_fmac_f32_e32 v11, v17, v8
	v_cndmask_b32_e64 v13, 0, 1.0, vcc_lo
	v_cmp_gt_f32_e32 vcc_lo, 0, v16
	v_add_f32_e32 v5, v5, v11
	s_delay_alu instid0(VALU_DEP_3) | instskip(SKIP_2) | instid1(VALU_DEP_3)
	v_mul_f32_e32 v13, v20, v13
	v_cndmask_b32_e64 v7, 0, 1.0, vcc_lo
	v_cmp_lt_f32_e32 vcc_lo, 0, v10
	v_fmac_f32_e32 v13, v19, v9
	s_delay_alu instid0(VALU_DEP_3) | instskip(SKIP_1) | instid1(VALU_DEP_3)
	v_mul_f32_e32 v7, v21, v7
	v_cndmask_b32_e64 v8, 0, 1.0, vcc_lo
	v_add_f32_e32 v5, v5, v13
	s_delay_alu instid0(VALU_DEP_2) | instskip(NEXT) | instid1(VALU_DEP_1)
	v_fmac_f32_e32 v7, v15, v8
	v_add_f32_e32 v5, v5, v7
	s_cbranch_scc0 .LBB0_9
; %bb.10:
	s_and_b32 s4, s18, 3
	s_mov_b32 s21, 0
	s_cmp_eq_u32 s4, 0
	s_cbranch_scc0 .LBB0_13
	s_branch .LBB0_15
.LBB0_11:
	v_mov_b32_e32 v5, 0
	s_branch .LBB0_15
.LBB0_12:
	v_mov_b32_e32 v5, 0
	s_mov_b32 s20, 0
	s_and_b32 s4, s18, 3
	s_mov_b32 s21, 0
	s_cmp_eq_u32 s4, 0
	s_cbranch_scc1 .LBB0_15
.LBB0_13:
	v_add_nc_u32_e32 v0, s20, v0
	s_lshl_b64 s[2:3], s[20:21], 2
	s_delay_alu instid0(SALU_CYCLE_1) | instskip(SKIP_1) | instid1(VALU_DEP_1)
	s_add_u32 s0, s16, s2
	s_addc_u32 s1, s17, s3
	v_lshl_add_u32 v0, v0, 2, 0
	s_add_u32 s2, s10, s2
	s_addc_u32 s3, s11, s3
	s_set_inst_prefetch_distance 0x1
	.p2align	6
.LBB0_14:                               ; =>This Inner Loop Header: Depth=1
	ds_load_b32 v6, v0
	s_load_b32 s5, s[2:3], 0x0
	s_load_b32 s6, s[0:1], 0x0
	s_add_u32 s0, s0, 4
	s_addc_u32 s1, s1, 0
	s_add_u32 s2, s2, 4
	s_addc_u32 s3, s3, 0
	s_add_i32 s4, s4, -1
	v_add_nc_u32_e32 v0, 4, v0
	s_cmp_lg_u32 s4, 0
	s_waitcnt vmcnt(1) lgkmcnt(0)
	v_sub_f32_e32 v6, v6, v3
	s_waitcnt vmcnt(0)
	s_delay_alu instid0(VALU_DEP_1) | instskip(SKIP_1) | instid1(VALU_DEP_2)
	v_div_scale_f32 v7, null, v4, v4, v6
	v_div_scale_f32 v10, vcc_lo, v6, v4, v6
	v_rcp_f32_e32 v8, v7
	s_waitcnt_depctr 0xfff
	v_fma_f32 v9, -v7, v8, 1.0
	s_delay_alu instid0(VALU_DEP_1) | instskip(NEXT) | instid1(VALU_DEP_1)
	v_fmac_f32_e32 v8, v9, v8
	v_mul_f32_e32 v9, v10, v8
	s_delay_alu instid0(VALU_DEP_1) | instskip(NEXT) | instid1(VALU_DEP_1)
	v_fma_f32 v11, -v7, v9, v10
	v_fmac_f32_e32 v9, v11, v8
	s_delay_alu instid0(VALU_DEP_1) | instskip(NEXT) | instid1(VALU_DEP_1)
	v_fma_f32 v7, -v7, v9, v10
	v_div_fmas_f32 v7, v7, v8, v9
	s_delay_alu instid0(VALU_DEP_1) | instskip(NEXT) | instid1(VALU_DEP_1)
	v_div_fixup_f32 v6, v7, v4, v6
	v_subrev_f32_e32 v7, s5, v6
	v_subrev_f32_e32 v6, s6, v6
	s_delay_alu instid0(VALU_DEP_2) | instskip(NEXT) | instid1(VALU_DEP_2)
	v_cmp_gt_f32_e32 vcc_lo, 0, v7
	v_dual_mul_f32 v8, v7, v7 :: v_dual_mul_f32 v9, v6, v6
	v_cndmask_b32_e64 v7, 0, 1.0, vcc_lo
	v_cmp_lt_f32_e32 vcc_lo, 0, v6
	s_delay_alu instid0(VALU_DEP_2) | instskip(SKIP_1) | instid1(VALU_DEP_1)
	v_mul_f32_e32 v7, v8, v7
	v_cndmask_b32_e64 v6, 0, 1.0, vcc_lo
	v_fmac_f32_e32 v7, v9, v6
	s_delay_alu instid0(VALU_DEP_1)
	v_add_f32_e32 v5, v5, v7
	s_cbranch_scc1 .LBB0_14
.LBB0_15:
	s_set_inst_prefetch_distance 0x2
	s_delay_alu instid0(VALU_DEP_2)
	v_add_co_u32 v0, vcc_lo, s8, v1
	v_add_co_ci_u32_e32 v1, vcc_lo, s9, v2, vcc_lo
	global_store_b32 v[0:1], v5, off
.LBB0_16:
	s_nop 0
	s_sendmsg sendmsg(MSG_DEALLOC_VGPRS)
	s_endpgm
	.section	.rodata,"a",@progbits
	.p2align	6, 0x0
	.amdhsa_kernel _Z8lb_keoghPKfS0_S0_PfS0_S0_ii
		.amdhsa_group_segment_fixed_size 0
		.amdhsa_private_segment_fixed_size 0
		.amdhsa_kernarg_size 312
		.amdhsa_user_sgpr_count 15
		.amdhsa_user_sgpr_dispatch_ptr 0
		.amdhsa_user_sgpr_queue_ptr 0
		.amdhsa_user_sgpr_kernarg_segment_ptr 1
		.amdhsa_user_sgpr_dispatch_id 0
		.amdhsa_user_sgpr_private_segment_size 0
		.amdhsa_wavefront_size32 1
		.amdhsa_uses_dynamic_stack 0
		.amdhsa_enable_private_segment 0
		.amdhsa_system_sgpr_workgroup_id_x 1
		.amdhsa_system_sgpr_workgroup_id_y 0
		.amdhsa_system_sgpr_workgroup_id_z 0
		.amdhsa_system_sgpr_workgroup_info 0
		.amdhsa_system_vgpr_workitem_id 0
		.amdhsa_next_free_vgpr 31
		.amdhsa_next_free_sgpr 24
		.amdhsa_reserve_vcc 1
		.amdhsa_float_round_mode_32 0
		.amdhsa_float_round_mode_16_64 0
		.amdhsa_float_denorm_mode_32 3
		.amdhsa_float_denorm_mode_16_64 3
		.amdhsa_dx10_clamp 1
		.amdhsa_ieee_mode 1
		.amdhsa_fp16_overflow 0
		.amdhsa_workgroup_processor_mode 1
		.amdhsa_memory_ordered 1
		.amdhsa_forward_progress 0
		.amdhsa_shared_vgpr_count 0
		.amdhsa_exception_fp_ieee_invalid_op 0
		.amdhsa_exception_fp_denorm_src 0
		.amdhsa_exception_fp_ieee_div_zero 0
		.amdhsa_exception_fp_ieee_overflow 0
		.amdhsa_exception_fp_ieee_underflow 0
		.amdhsa_exception_fp_ieee_inexact 0
		.amdhsa_exception_int_div_zero 0
	.end_amdhsa_kernel
	.text
.Lfunc_end0:
	.size	_Z8lb_keoghPKfS0_S0_PfS0_S0_ii, .Lfunc_end0-_Z8lb_keoghPKfS0_S0_PfS0_S0_ii
                                        ; -- End function
	.section	.AMDGPU.csdata,"",@progbits
; Kernel info:
; codeLenInByte = 1436
; NumSgprs: 26
; NumVgprs: 31
; ScratchSize: 0
; MemoryBound: 0
; FloatMode: 240
; IeeeMode: 1
; LDSByteSize: 0 bytes/workgroup (compile time only)
; SGPRBlocks: 3
; VGPRBlocks: 3
; NumSGPRsForWavesPerEU: 26
; NumVGPRsForWavesPerEU: 31
; Occupancy: 16
; WaveLimiterHint : 0
; COMPUTE_PGM_RSRC2:SCRATCH_EN: 0
; COMPUTE_PGM_RSRC2:USER_SGPR: 15
; COMPUTE_PGM_RSRC2:TRAP_HANDLER: 0
; COMPUTE_PGM_RSRC2:TGID_X_EN: 1
; COMPUTE_PGM_RSRC2:TGID_Y_EN: 0
; COMPUTE_PGM_RSRC2:TGID_Z_EN: 0
; COMPUTE_PGM_RSRC2:TIDIG_COMP_CNT: 0
	.text
	.p2alignl 7, 3214868480
	.fill 96, 4, 3214868480
	.type	__hip_cuid_e85b2bed2e060d04,@object ; @__hip_cuid_e85b2bed2e060d04
	.section	.bss,"aw",@nobits
	.globl	__hip_cuid_e85b2bed2e060d04
__hip_cuid_e85b2bed2e060d04:
	.byte	0                               ; 0x0
	.size	__hip_cuid_e85b2bed2e060d04, 1

	.ident	"AMD clang version 19.0.0git (https://github.com/RadeonOpenCompute/llvm-project roc-6.4.0 25133 c7fe45cf4b819c5991fe208aaa96edf142730f1d)"
	.section	".note.GNU-stack","",@progbits
	.addrsig
	.addrsig_sym __hip_cuid_e85b2bed2e060d04
	.amdgpu_metadata
---
amdhsa.kernels:
  - .args:
      - .actual_access:  read_only
        .address_space:  global
        .offset:         0
        .size:           8
        .value_kind:     global_buffer
      - .actual_access:  read_only
        .address_space:  global
        .offset:         8
        .size:           8
        .value_kind:     global_buffer
      - .actual_access:  read_only
        .address_space:  global
        .offset:         16
        .size:           8
        .value_kind:     global_buffer
      - .actual_access:  write_only
        .address_space:  global
        .offset:         24
        .size:           8
        .value_kind:     global_buffer
      - .actual_access:  read_only
        .address_space:  global
        .offset:         32
        .size:           8
        .value_kind:     global_buffer
      - .actual_access:  read_only
        .address_space:  global
        .offset:         40
        .size:           8
        .value_kind:     global_buffer
      - .offset:         48
        .size:           4
        .value_kind:     by_value
      - .offset:         52
        .size:           4
        .value_kind:     by_value
      - .offset:         56
        .size:           4
        .value_kind:     hidden_block_count_x
      - .offset:         60
        .size:           4
        .value_kind:     hidden_block_count_y
      - .offset:         64
        .size:           4
        .value_kind:     hidden_block_count_z
      - .offset:         68
        .size:           2
        .value_kind:     hidden_group_size_x
      - .offset:         70
        .size:           2
        .value_kind:     hidden_group_size_y
      - .offset:         72
        .size:           2
        .value_kind:     hidden_group_size_z
      - .offset:         74
        .size:           2
        .value_kind:     hidden_remainder_x
      - .offset:         76
        .size:           2
        .value_kind:     hidden_remainder_y
      - .offset:         78
        .size:           2
        .value_kind:     hidden_remainder_z
      - .offset:         96
        .size:           8
        .value_kind:     hidden_global_offset_x
      - .offset:         104
        .size:           8
        .value_kind:     hidden_global_offset_y
      - .offset:         112
        .size:           8
        .value_kind:     hidden_global_offset_z
      - .offset:         120
        .size:           2
        .value_kind:     hidden_grid_dims
      - .offset:         176
        .size:           4
        .value_kind:     hidden_dynamic_lds_size
    .group_segment_fixed_size: 0
    .kernarg_segment_align: 8
    .kernarg_segment_size: 312
    .language:       OpenCL C
    .language_version:
      - 2
      - 0
    .max_flat_workgroup_size: 1024
    .name:           _Z8lb_keoghPKfS0_S0_PfS0_S0_ii
    .private_segment_fixed_size: 0
    .sgpr_count:     26
    .sgpr_spill_count: 0
    .symbol:         _Z8lb_keoghPKfS0_S0_PfS0_S0_ii.kd
    .uniform_work_group_size: 1
    .uses_dynamic_stack: false
    .vgpr_count:     31
    .vgpr_spill_count: 0
    .wavefront_size: 32
    .workgroup_processor_mode: 1
amdhsa.target:   amdgcn-amd-amdhsa--gfx1100
amdhsa.version:
  - 1
  - 2
...

	.end_amdgpu_metadata
